;; amdgpu-corpus repo=ROCm/rocFFT kind=compiled arch=gfx950 opt=O3
	.text
	.amdgcn_target "amdgcn-amd-amdhsa--gfx950"
	.amdhsa_code_object_version 6
	.protected	fft_rtc_fwd_len308_factors_11_7_4_wgs_44_tpt_44_half_op_CI_CI_sbrr_dirReg ; -- Begin function fft_rtc_fwd_len308_factors_11_7_4_wgs_44_tpt_44_half_op_CI_CI_sbrr_dirReg
	.globl	fft_rtc_fwd_len308_factors_11_7_4_wgs_44_tpt_44_half_op_CI_CI_sbrr_dirReg
	.p2align	8
	.type	fft_rtc_fwd_len308_factors_11_7_4_wgs_44_tpt_44_half_op_CI_CI_sbrr_dirReg,@function
fft_rtc_fwd_len308_factors_11_7_4_wgs_44_tpt_44_half_op_CI_CI_sbrr_dirReg: ; @fft_rtc_fwd_len308_factors_11_7_4_wgs_44_tpt_44_half_op_CI_CI_sbrr_dirReg
; %bb.0:
	s_load_dwordx4 s[12:15], s[0:1], 0x18
	s_load_dwordx4 s[8:11], s[0:1], 0x0
	;; [unrolled: 1-line block ×3, first 2 shown]
	v_mul_u32_u24_e32 v1, 0x5d2, v0
	v_add_u32_sdwa v10, s2, v1 dst_sel:DWORD dst_unused:UNUSED_PAD src0_sel:DWORD src1_sel:WORD_1
	s_waitcnt lgkmcnt(0)
	s_load_dwordx2 s[18:19], s[12:13], 0x0
	s_load_dwordx2 s[16:17], s[14:15], 0x0
	v_mov_b32_e32 v8, 0
	v_cmp_lt_u64_e64 s[2:3], s[10:11], 2
	v_mov_b32_e32 v11, v8
	s_and_b64 vcc, exec, s[2:3]
	v_mov_b64_e32 v[6:7], 0
	s_cbranch_vccnz .LBB0_8
; %bb.1:
	s_load_dwordx2 s[2:3], s[0:1], 0x10
	s_add_u32 s20, s14, 8
	s_addc_u32 s21, s15, 0
	s_add_u32 s22, s12, 8
	s_addc_u32 s23, s13, 0
	s_waitcnt lgkmcnt(0)
	s_add_u32 s24, s2, 8
	v_mov_b64_e32 v[6:7], 0
	s_addc_u32 s25, s3, 0
	s_mov_b64 s[26:27], 1
	v_mov_b64_e32 v[2:3], v[6:7]
.LBB0_2:                                ; =>This Inner Loop Header: Depth=1
	s_load_dwordx2 s[28:29], s[24:25], 0x0
                                        ; implicit-def: $vgpr4_vgpr5
	s_waitcnt lgkmcnt(0)
	v_or_b32_e32 v9, s29, v11
	v_cmp_ne_u64_e32 vcc, 0, v[8:9]
	s_and_saveexec_b64 s[2:3], vcc
	s_xor_b64 s[30:31], exec, s[2:3]
	s_cbranch_execz .LBB0_4
; %bb.3:                                ;   in Loop: Header=BB0_2 Depth=1
	v_cvt_f32_u32_e32 v1, s28
	v_cvt_f32_u32_e32 v4, s29
	s_sub_u32 s2, 0, s28
	s_subb_u32 s3, 0, s29
	v_fmac_f32_e32 v1, 0x4f800000, v4
	v_rcp_f32_e32 v1, v1
	s_nop 0
	v_mul_f32_e32 v1, 0x5f7ffffc, v1
	v_mul_f32_e32 v4, 0x2f800000, v1
	v_trunc_f32_e32 v4, v4
	v_fmac_f32_e32 v1, 0xcf800000, v4
	v_cvt_u32_f32_e32 v9, v4
	v_cvt_u32_f32_e32 v1, v1
	v_mul_lo_u32 v4, s2, v9
	v_mul_hi_u32 v12, s2, v1
	v_mul_lo_u32 v5, s3, v1
	v_add_u32_e32 v12, v12, v4
	v_mul_lo_u32 v14, s2, v1
	v_add_u32_e32 v15, v12, v5
	v_mul_hi_u32 v4, v1, v14
	v_mul_hi_u32 v13, v1, v15
	v_mul_lo_u32 v12, v1, v15
	v_mov_b32_e32 v5, v8
	v_lshl_add_u64 v[4:5], v[4:5], 0, v[12:13]
	v_mul_hi_u32 v13, v9, v14
	v_mul_lo_u32 v14, v9, v14
	v_add_co_u32_e32 v4, vcc, v4, v14
	v_mul_hi_u32 v12, v9, v15
	s_nop 0
	v_addc_co_u32_e32 v4, vcc, v5, v13, vcc
	v_mov_b32_e32 v5, v8
	s_nop 0
	v_addc_co_u32_e32 v13, vcc, 0, v12, vcc
	v_mul_lo_u32 v12, v9, v15
	v_lshl_add_u64 v[4:5], v[4:5], 0, v[12:13]
	v_add_co_u32_e32 v1, vcc, v1, v4
	v_mul_lo_u32 v12, s2, v1
	s_nop 0
	v_addc_co_u32_e32 v9, vcc, v9, v5, vcc
	v_mul_lo_u32 v4, s2, v9
	v_mul_hi_u32 v5, s2, v1
	v_add_u32_e32 v4, v5, v4
	v_mul_lo_u32 v5, s3, v1
	v_add_u32_e32 v14, v4, v5
	v_mul_hi_u32 v16, v9, v12
	v_mul_lo_u32 v17, v9, v12
	v_mul_hi_u32 v5, v1, v14
	v_mul_lo_u32 v4, v1, v14
	v_mul_hi_u32 v12, v1, v12
	v_mov_b32_e32 v13, v8
	v_lshl_add_u64 v[4:5], v[12:13], 0, v[4:5]
	v_add_co_u32_e32 v4, vcc, v4, v17
	v_mul_hi_u32 v15, v9, v14
	s_nop 0
	v_addc_co_u32_e32 v4, vcc, v5, v16, vcc
	v_mul_lo_u32 v12, v9, v14
	s_nop 0
	v_addc_co_u32_e32 v13, vcc, 0, v15, vcc
	v_mov_b32_e32 v5, v8
	v_lshl_add_u64 v[4:5], v[4:5], 0, v[12:13]
	v_add_co_u32_e32 v1, vcc, v1, v4
	v_mul_hi_u32 v12, v10, v1
	s_nop 0
	v_addc_co_u32_e32 v9, vcc, v9, v5, vcc
	v_mad_u64_u32 v[4:5], s[2:3], v10, v9, 0
	v_mov_b32_e32 v13, v8
	v_lshl_add_u64 v[4:5], v[12:13], 0, v[4:5]
	v_mad_u64_u32 v[14:15], s[2:3], v11, v1, 0
	v_add_co_u32_e32 v1, vcc, v4, v14
	v_mad_u64_u32 v[12:13], s[2:3], v11, v9, 0
	s_nop 0
	v_addc_co_u32_e32 v4, vcc, v5, v15, vcc
	v_mov_b32_e32 v5, v8
	s_nop 0
	v_addc_co_u32_e32 v13, vcc, 0, v13, vcc
	v_lshl_add_u64 v[4:5], v[4:5], 0, v[12:13]
	v_mul_lo_u32 v1, s29, v4
	v_mul_lo_u32 v9, s28, v5
	v_mad_u64_u32 v[12:13], s[2:3], s28, v4, 0
	v_add3_u32 v1, v13, v9, v1
	v_sub_u32_e32 v9, v11, v1
	v_mov_b32_e32 v13, s29
	v_sub_co_u32_e32 v16, vcc, v10, v12
	v_lshl_add_u64 v[14:15], v[4:5], 0, 1
	s_nop 0
	v_subb_co_u32_e64 v9, s[2:3], v9, v13, vcc
	v_subrev_co_u32_e64 v12, s[2:3], s28, v16
	v_subb_co_u32_e32 v1, vcc, v11, v1, vcc
	s_nop 0
	v_subbrev_co_u32_e64 v9, s[2:3], 0, v9, s[2:3]
	v_cmp_le_u32_e64 s[2:3], s29, v9
	v_cmp_le_u32_e32 vcc, s29, v1
	s_nop 0
	v_cndmask_b32_e64 v13, 0, -1, s[2:3]
	v_cmp_le_u32_e64 s[2:3], s28, v12
	s_nop 1
	v_cndmask_b32_e64 v12, 0, -1, s[2:3]
	v_cmp_eq_u32_e64 s[2:3], s29, v9
	s_nop 1
	v_cndmask_b32_e64 v9, v13, v12, s[2:3]
	v_lshl_add_u64 v[12:13], v[4:5], 0, 2
	v_cmp_ne_u32_e64 s[2:3], 0, v9
	s_nop 1
	v_cndmask_b32_e64 v9, v15, v13, s[2:3]
	v_cndmask_b32_e64 v13, 0, -1, vcc
	v_cmp_le_u32_e32 vcc, s28, v16
	s_nop 1
	v_cndmask_b32_e64 v15, 0, -1, vcc
	v_cmp_eq_u32_e32 vcc, s29, v1
	s_nop 1
	v_cndmask_b32_e32 v1, v13, v15, vcc
	v_cmp_ne_u32_e32 vcc, 0, v1
	v_cndmask_b32_e64 v1, v14, v12, s[2:3]
	s_nop 0
	v_cndmask_b32_e32 v5, v5, v9, vcc
	v_cndmask_b32_e32 v4, v4, v1, vcc
.LBB0_4:                                ;   in Loop: Header=BB0_2 Depth=1
	s_andn2_saveexec_b64 s[2:3], s[30:31]
	s_cbranch_execz .LBB0_6
; %bb.5:                                ;   in Loop: Header=BB0_2 Depth=1
	v_cvt_f32_u32_e32 v1, s28
	s_sub_i32 s30, 0, s28
	v_rcp_iflag_f32_e32 v1, v1
	s_nop 0
	v_mul_f32_e32 v1, 0x4f7ffffe, v1
	v_cvt_u32_f32_e32 v1, v1
	v_mul_lo_u32 v4, s30, v1
	v_mul_hi_u32 v4, v1, v4
	v_add_u32_e32 v1, v1, v4
	v_mul_hi_u32 v1, v10, v1
	v_mul_lo_u32 v4, v1, s28
	v_sub_u32_e32 v4, v10, v4
	v_add_u32_e32 v5, 1, v1
	v_subrev_u32_e32 v9, s28, v4
	v_cmp_le_u32_e32 vcc, s28, v4
	s_nop 1
	v_cndmask_b32_e32 v4, v4, v9, vcc
	v_cndmask_b32_e32 v1, v1, v5, vcc
	v_add_u32_e32 v5, 1, v1
	v_cmp_le_u32_e32 vcc, s28, v4
	s_nop 1
	v_cndmask_b32_e32 v4, v1, v5, vcc
	v_mov_b32_e32 v5, v8
.LBB0_6:                                ;   in Loop: Header=BB0_2 Depth=1
	s_or_b64 exec, exec, s[2:3]
	v_mad_u64_u32 v[12:13], s[2:3], v4, s28, 0
	s_load_dwordx2 s[2:3], s[22:23], 0x0
	v_mul_lo_u32 v1, v5, s28
	v_mul_lo_u32 v9, v4, s29
	s_load_dwordx2 s[28:29], s[20:21], 0x0
	s_add_u32 s26, s26, 1
	v_add3_u32 v1, v13, v9, v1
	v_sub_co_u32_e32 v9, vcc, v10, v12
	s_addc_u32 s27, s27, 0
	s_nop 0
	v_subb_co_u32_e32 v1, vcc, v11, v1, vcc
	s_add_u32 s20, s20, 8
	s_waitcnt lgkmcnt(0)
	v_mul_lo_u32 v10, s2, v1
	v_mul_lo_u32 v11, s3, v9
	v_mad_u64_u32 v[6:7], s[2:3], s2, v9, v[6:7]
	s_addc_u32 s21, s21, 0
	v_add3_u32 v7, v11, v7, v10
	v_mul_lo_u32 v1, s28, v1
	v_mul_lo_u32 v10, s29, v9
	v_mad_u64_u32 v[2:3], s[2:3], s28, v9, v[2:3]
	s_add_u32 s22, s22, 8
	v_add3_u32 v3, v10, v3, v1
	s_addc_u32 s23, s23, 0
	v_mov_b64_e32 v[10:11], s[10:11]
	s_add_u32 s24, s24, 8
	v_cmp_ge_u64_e32 vcc, s[26:27], v[10:11]
	s_addc_u32 s25, s25, 0
	s_cbranch_vccnz .LBB0_9
; %bb.7:                                ;   in Loop: Header=BB0_2 Depth=1
	v_mov_b64_e32 v[10:11], v[4:5]
	s_branch .LBB0_2
.LBB0_8:
	v_mov_b64_e32 v[2:3], v[6:7]
	v_mov_b64_e32 v[4:5], v[10:11]
.LBB0_9:
	s_load_dwordx2 s[0:1], s[0:1], 0x28
	s_lshl_b64 s[10:11], s[10:11], 3
	s_add_u32 s2, s14, s10
	s_addc_u32 s3, s15, s11
                                        ; implicit-def: $vgpr16
	s_waitcnt lgkmcnt(0)
	v_cmp_gt_u64_e32 vcc, s[0:1], v[4:5]
	v_cmp_le_u64_e64 s[0:1], s[0:1], v[4:5]
	s_and_saveexec_b64 s[14:15], s[0:1]
	s_xor_b64 s[0:1], exec, s[14:15]
; %bb.10:
	s_mov_b32 s14, 0x5d1745e
	v_mul_hi_u32 v1, v0, s14
	v_mul_u32_u24_e32 v1, 44, v1
	v_sub_u32_e32 v16, v0, v1
                                        ; implicit-def: $vgpr0
                                        ; implicit-def: $vgpr6_vgpr7
; %bb.11:
	s_andn2_saveexec_b64 s[0:1], s[0:1]
	s_cbranch_execz .LBB0_13
; %bb.12:
	s_add_u32 s10, s12, s10
	s_addc_u32 s11, s13, s11
	s_load_dwordx2 s[10:11], s[10:11], 0x0
	s_mov_b32 s12, 0x5d1745e
	s_waitcnt lgkmcnt(0)
	v_mul_lo_u32 v1, s11, v4
	v_mul_lo_u32 v10, s10, v5
	v_mad_u64_u32 v[8:9], s[10:11], s10, v4, 0
	v_add3_u32 v9, v9, v10, v1
	v_mul_hi_u32 v1, v0, s12
	v_mul_u32_u24_e32 v1, 44, v1
	v_sub_u32_e32 v16, v0, v1
	v_mad_u64_u32 v[0:1], s[10:11], s18, v16, 0
	v_mov_b32_e32 v10, v1
	v_mad_u64_u32 v[10:11], s[10:11], s19, v16, v[10:11]
	v_lshl_add_u64 v[8:9], v[8:9], 2, s[4:5]
	v_add_u32_e32 v11, 44, v16
	v_lshl_add_u64 v[6:7], v[6:7], 2, v[8:9]
	v_mad_u64_u32 v[8:9], s[4:5], s18, v11, 0
	v_mov_b32_e32 v1, v10
	v_mov_b32_e32 v10, v9
	v_mad_u64_u32 v[10:11], s[4:5], s19, v11, v[10:11]
	v_add_u32_e32 v13, 0x58, v16
	v_mov_b32_e32 v9, v10
	v_mad_u64_u32 v[10:11], s[4:5], s18, v13, 0
	v_mov_b32_e32 v12, v11
	v_mad_u64_u32 v[12:13], s[4:5], s19, v13, v[12:13]
	v_add_u32_e32 v15, 0x84, v16
	v_mov_b32_e32 v11, v12
	v_mad_u64_u32 v[12:13], s[4:5], s18, v15, 0
	;; [unrolled: 5-line block ×5, first 2 shown]
	v_mov_b32_e32 v22, v21
	v_mad_u64_u32 v[22:23], s[4:5], s19, v17, v[22:23]
	v_lshl_add_u64 v[0:1], v[0:1], 2, v[6:7]
	v_mov_b32_e32 v21, v22
	v_lshl_add_u64 v[8:9], v[8:9], 2, v[6:7]
	v_lshl_add_u64 v[10:11], v[10:11], 2, v[6:7]
	;; [unrolled: 1-line block ×6, first 2 shown]
	global_load_dword v17, v[0:1], off
	global_load_dword v20, v[8:9], off
	;; [unrolled: 1-line block ×7, first 2 shown]
	v_lshl_add_u32 v0, v16, 2, 0
	s_waitcnt vmcnt(5)
	ds_write2_b32 v0, v17, v20 offset1:44
	s_waitcnt vmcnt(3)
	ds_write2_b32 v0, v21, v22 offset0:88 offset1:132
	s_waitcnt vmcnt(1)
	ds_write2_b32 v0, v23, v24 offset0:176 offset1:220
	s_waitcnt vmcnt(0)
	ds_write_b32 v0, v25 offset:1056
.LBB0_13:
	s_or_b64 exec, exec, s[0:1]
	v_lshl_add_u32 v17, v16, 2, 0
	s_waitcnt lgkmcnt(0)
	; wave barrier
	s_waitcnt lgkmcnt(0)
	ds_read2_b32 v[6:7], v17 offset1:28
	ds_read_b32 v27, v17 offset:1120
	ds_read2_b32 v[14:15], v17 offset0:56 offset1:84
	ds_read2_b32 v[12:13], v17 offset0:112 offset1:140
	;; [unrolled: 1-line block ×4, first 2 shown]
	s_waitcnt lgkmcnt(4)
	v_sub_f16_sdwa v29, v7, v27 dst_sel:DWORD dst_unused:UNUSED_PAD src0_sel:WORD_1 src1_sel:WORD_1
	v_add_f16_e32 v0, v27, v7
	v_sub_f16_e32 v31, v7, v27
	s_mov_b32 s10, 0xb93d
	v_mul_f16_e32 v39, 0xba0c, v29
	s_waitcnt lgkmcnt(0)
	v_sub_f16_sdwa v30, v14, v9 dst_sel:DWORD dst_unused:UNUSED_PAD src0_sel:WORD_1 src1_sel:WORD_1
	v_add_f16_sdwa v20, v27, v7 dst_sel:DWORD dst_unused:UNUSED_PAD src0_sel:WORD_1 src1_sel:WORD_1
	v_mul_f16_e32 v42, 0xba0c, v31
	v_fma_f16 v1, v0, s10, v39
	v_add_f16_e32 v19, v9, v14
	v_sub_f16_e32 v33, v14, v9
	s_mov_b32 s11, 0xb08e
	v_mul_f16_e32 v40, 0x3beb, v30
	v_add_f16_e32 v1, v6, v1
	v_fma_f16 v18, v20, s10, -v42
	v_add_f16_sdwa v22, v9, v14 dst_sel:DWORD dst_unused:UNUSED_PAD src0_sel:WORD_1 src1_sel:WORD_1
	v_mul_f16_e32 v44, 0x3beb, v33
	v_fma_f16 v21, v19, s11, v40
	v_add_f16_sdwa v18, v6, v18 dst_sel:DWORD dst_unused:UNUSED_PAD src0_sel:WORD_1 src1_sel:DWORD
	v_add_f16_e32 v1, v21, v1
	v_fma_f16 v21, v22, s11, -v44
	v_sub_f16_sdwa v32, v15, v8 dst_sel:DWORD dst_unused:UNUSED_PAD src0_sel:WORD_1 src1_sel:WORD_1
	v_add_f16_e32 v18, v21, v18
	v_add_f16_e32 v21, v8, v15
	v_sub_f16_e32 v35, v15, v8
	s_movk_i32 s12, 0x3abb
	v_mul_f16_e32 v41, 0xb853, v32
	v_add_f16_sdwa v24, v8, v15 dst_sel:DWORD dst_unused:UNUSED_PAD src0_sel:WORD_1 src1_sel:WORD_1
	v_mul_f16_e32 v45, 0xb853, v35
	v_fma_f16 v23, v21, s12, v41
	v_add_f16_e32 v1, v23, v1
	v_fma_f16 v23, v24, s12, -v45
	v_sub_f16_sdwa v34, v12, v11 dst_sel:DWORD dst_unused:UNUSED_PAD src0_sel:WORD_1 src1_sel:WORD_1
	v_add_f16_e32 v18, v23, v18
	v_add_f16_e32 v23, v11, v12
	v_sub_f16_e32 v37, v12, v11
	s_mov_b32 s13, 0xbbad
	v_mul_f16_e32 v43, 0xb482, v34
	v_add_f16_sdwa v26, v11, v12 dst_sel:DWORD dst_unused:UNUSED_PAD src0_sel:WORD_1 src1_sel:WORD_1
	v_mul_f16_e32 v47, 0xb482, v37
	v_fma_f16 v25, v23, s13, v43
	v_add_f16_e32 v1, v25, v1
	v_fma_f16 v25, v26, s13, -v47
	v_sub_f16_sdwa v36, v13, v10 dst_sel:DWORD dst_unused:UNUSED_PAD src0_sel:WORD_1 src1_sel:WORD_1
	v_add_f16_e32 v18, v25, v18
	v_add_f16_e32 v25, v10, v13
	v_sub_f16_e32 v38, v13, v10
	s_movk_i32 s14, 0x36a6
	v_mul_f16_e32 v46, 0x3b47, v36
	v_add_f16_sdwa v28, v10, v13 dst_sel:DWORD dst_unused:UNUSED_PAD src0_sel:WORD_1 src1_sel:WORD_1
	v_mul_f16_e32 v48, 0x3b47, v38
	v_fma_f16 v49, v25, s14, v46
	v_add_f16_e32 v1, v49, v1
	v_fma_f16 v49, v28, s14, -v48
	v_add_f16_e32 v18, v49, v18
	v_cmp_gt_u32_e64 s[0:1], 28, v16
	s_waitcnt lgkmcnt(0)
	; wave barrier
	s_and_saveexec_b64 s[4:5], s[0:1]
	s_cbranch_execz .LBB0_15
; %bb.14:
	s_mov_b32 s0, 0x5040100
	v_perm_b32 v50, v29, v20, s0
	s_mov_b32 s1, 0xb482bbad
	v_pk_mul_f16 v50, v50, s1
	v_perm_b32 v51, v0, v31, s0
	s_mov_b32 s1, 0xbbadb482
	v_perm_b32 v53, v30, v22, s0
	s_mov_b32 s15, 0x38533abb
	v_pk_fma_f16 v52, v51, s1, v50 neg_lo:[1,0,0] neg_hi:[1,0,0]
	v_pk_mul_f16 v53, v53, s15
	v_perm_b32 v54, v19, v33, s0
	s_mov_b32 s15, 0x3abb3853
	v_pk_add_f16 v52, v6, v52 op_sel:[1,0] op_sel_hi:[0,1]
	v_pk_fma_f16 v55, v54, s15, v53 neg_lo:[1,0,0] neg_hi:[1,0,0]
	s_mov_b32 s18, 0xba0cb93d
	v_pk_add_f16 v52, v55, v52
	v_perm_b32 v55, v32, v24, s0
	v_pk_mul_f16 v55, v55, s18
	v_perm_b32 v56, v21, v35, s0
	s_mov_b32 s18, 0xb93dba0c
	v_pk_fma_f16 v57, v56, s18, v55 neg_lo:[1,0,0] neg_hi:[1,0,0]
	s_mov_b32 s19, 0x3b4736a6
	v_pk_add_f16 v52, v57, v52
	v_perm_b32 v57, v34, v26, s0
	v_pk_mul_f16 v57, v57, s19
	v_perm_b32 v58, v23, v37, s0
	s_mov_b32 s19, 0x36a63b47
	;; [unrolled: 7-line block ×3, first 2 shown]
	v_pk_fma_f16 v61, v60, s20, v59 neg_lo:[1,0,0] neg_hi:[1,0,0]
	v_pk_fma_f16 v62, v54, s15, v53 neg_lo:[0,0,1] neg_hi:[0,0,1]
	v_pk_add_f16 v52, v61, v52
	v_pk_fma_f16 v61, v51, s1, v50 neg_lo:[0,0,1] neg_hi:[0,0,1]
	v_mul_f16_e32 v49, 0xb93d, v0
	v_pk_add_f16 v61, v6, v61 op_sel:[1,0] op_sel_hi:[0,1]
	v_pk_add_f16 v61, v62, v61
	v_pk_fma_f16 v62, v56, s18, v55 neg_lo:[0,0,1] neg_hi:[0,0,1]
	v_sub_f16_e32 v39, v49, v39
	v_pk_add_f16 v61, v62, v61
	v_pk_fma_f16 v62, v58, s19, v57 neg_lo:[0,0,1] neg_hi:[0,0,1]
	v_add_f16_e32 v39, v6, v39
	v_pk_add_f16 v61, v62, v61
	v_pk_fma_f16 v62, v60, s20, v59 neg_lo:[0,0,1] neg_hi:[0,0,1]
	v_add_f16_e32 v49, v6, v7
	v_pk_add_f16 v61, v62, v61
	v_mul_f16_e32 v62, 0xb93d, v20
	v_add_f16_e32 v42, v42, v62
	v_mul_f16_e32 v62, 0xb08e, v22
	v_add_f16_e32 v44, v44, v62
	v_add_f16_sdwa v42, v6, v42 dst_sel:DWORD dst_unused:UNUSED_PAD src0_sel:WORD_1 src1_sel:DWORD
	v_add_f16_e32 v42, v44, v42
	v_mul_f16_e32 v44, 0x3abb, v24
	v_add_f16_e32 v44, v45, v44
	v_mul_f16_e32 v62, 0xb08e, v19
	;; [unrolled: 2-line block ×3, first 2 shown]
	v_mul_f16_e32 v45, 0x3abb, v21
	v_add_f16_e32 v44, v47, v44
	v_sub_f16_e32 v40, v62, v40
	v_mul_f16_e32 v47, 0xbbad, v23
	v_add_f16_e32 v42, v44, v42
	v_mul_f16_e32 v44, 0x36a6, v28
	v_add_f16_e32 v39, v40, v39
	v_sub_f16_e32 v40, v45, v41
	v_add_f16_e32 v44, v48, v44
	v_mul_f16_e32 v48, 0x36a6, v25
	v_add_f16_e32 v39, v40, v39
	v_sub_f16_e32 v40, v47, v43
	v_add_f16_e32 v39, v40, v39
	v_sub_f16_e32 v40, v48, v46
	v_add_f16_e32 v39, v40, v39
	v_mul_f16_e32 v40, 0xbbeb, v31
	v_fma_f16 v41, v20, s11, v40
	v_mul_f16_e32 v43, 0x3482, v33
	v_add_f16_e32 v42, v44, v42
	v_add_f16_sdwa v41, v6, v41 dst_sel:DWORD dst_unused:UNUSED_PAD src0_sel:WORD_1 src1_sel:DWORD
	v_fma_f16 v44, v22, s13, v43
	v_add_f16_e32 v41, v44, v41
	v_mul_f16_e32 v44, 0x3b47, v35
	v_fma_f16 v45, v24, s14, v44
	v_add_f16_e32 v41, v45, v41
	v_mul_f16_e32 v45, 0xb853, v37
	;; [unrolled: 3-line block ×3, first 2 shown]
	v_add_f16_sdwa v7, v6, v7 dst_sel:DWORD dst_unused:UNUSED_PAD src0_sel:WORD_1 src1_sel:WORD_1
	v_fma_f16 v47, v28, s10, v46
	v_add_f16_e32 v49, v49, v14
	v_add_f16_sdwa v7, v7, v14 dst_sel:DWORD dst_unused:UNUSED_PAD src0_sel:DWORD src1_sel:WORD_1
	v_add_f16_e32 v41, v47, v41
	v_mul_f16_e32 v47, 0xbbeb, v29
	v_add_f16_e32 v49, v49, v15
	v_add_f16_sdwa v7, v7, v15 dst_sel:DWORD dst_unused:UNUSED_PAD src0_sel:DWORD src1_sel:WORD_1
	v_fma_f16 v48, v0, s11, -v47
	v_mul_f16_e32 v14, 0x3482, v30
	v_add_f16_e32 v49, v49, v12
	v_add_f16_sdwa v7, v7, v12 dst_sel:DWORD dst_unused:UNUSED_PAD src0_sel:DWORD src1_sel:WORD_1
	v_add_f16_e32 v48, v6, v48
	v_fma_f16 v15, v19, s13, -v14
	v_add_f16_e32 v49, v49, v13
	v_add_f16_sdwa v7, v7, v13 dst_sel:DWORD dst_unused:UNUSED_PAD src0_sel:DWORD src1_sel:WORD_1
	v_add_f16_e32 v15, v15, v48
	v_mul_f16_e32 v48, 0x3b47, v32
	v_add_f16_e32 v49, v49, v10
	v_add_f16_sdwa v7, v7, v10 dst_sel:DWORD dst_unused:UNUSED_PAD src0_sel:DWORD src1_sel:WORD_1
	v_fma_f16 v62, v21, s14, -v48
	v_mul_f16_e32 v12, 0xb853, v34
	v_add_f16_e32 v49, v49, v11
	v_add_f16_sdwa v7, v7, v11 dst_sel:DWORD dst_unused:UNUSED_PAD src0_sel:DWORD src1_sel:WORD_1
	v_mul_f16_e32 v10, 0xbb47, v31
	v_add_f16_e32 v15, v62, v15
	v_fma_f16 v13, v23, s12, -v12
	v_fma_f16 v11, v20, s14, v10
	v_add_f16_e32 v49, v49, v8
	v_add_f16_sdwa v7, v7, v8 dst_sel:DWORD dst_unused:UNUSED_PAD src0_sel:DWORD src1_sel:WORD_1
	v_mul_f16_e32 v8, 0xba0c, v33
	v_add_f16_e32 v13, v13, v15
	v_mul_f16_e32 v15, 0xba0c, v36
	v_add_f16_sdwa v11, v6, v11 dst_sel:DWORD dst_unused:UNUSED_PAD src0_sel:WORD_1 src1_sel:DWORD
	v_add_f16_e32 v49, v49, v9
	v_add_f16_sdwa v7, v7, v9 dst_sel:DWORD dst_unused:UNUSED_PAD src0_sel:DWORD src1_sel:WORD_1
	v_fma_f16 v9, v22, s10, v8
	v_fma_f16 v62, v25, s10, -v15
	v_add_f16_e32 v9, v9, v11
	v_mul_f16_e32 v11, 0x3482, v35
	v_add_f16_e32 v13, v62, v13
	v_fma_f16 v62, v24, s13, v11
	v_add_f16_e32 v9, v62, v9
	v_mul_f16_e32 v62, 0x3beb, v37
	v_fma_f16 v63, v26, s11, v62
	v_add_f16_e32 v9, v63, v9
	v_mul_f16_e32 v63, 0x3853, v38
	;; [unrolled: 3-line block ×3, first 2 shown]
	v_fma_f16 v65, v0, s14, -v64
	v_mul_f16_e32 v66, 0xba0c, v30
	v_fma_f16 v10, v20, s14, -v10
	v_add_f16_e32 v65, v6, v65
	v_fma_f16 v67, v19, s10, -v66
	v_add_f16_e32 v49, v49, v27
	v_add_f16_sdwa v7, v7, v27 dst_sel:DWORD dst_unused:UNUSED_PAD src0_sel:DWORD src1_sel:WORD_1
	v_fma_f16 v27, v20, s11, -v40
	v_add_f16_sdwa v10, v6, v10 dst_sel:DWORD dst_unused:UNUSED_PAD src0_sel:WORD_1 src1_sel:DWORD
	v_fma_f16 v8, v22, s10, -v8
	v_add_f16_e32 v65, v67, v65
	v_mul_f16_e32 v67, 0x3482, v32
	v_add_f16_sdwa v27, v6, v27 dst_sel:DWORD dst_unused:UNUSED_PAD src0_sel:WORD_1 src1_sel:DWORD
	v_fma_f16 v40, v22, s13, -v43
	v_add_f16_e32 v8, v8, v10
	v_fma_f16 v10, v24, s13, -v11
	v_fma_f16 v68, v21, s13, -v67
	v_add_f16_e32 v27, v40, v27
	v_fma_f16 v40, v24, s14, -v44
	v_add_f16_e32 v8, v10, v8
	;; [unrolled: 2-line block ×3, first 2 shown]
	v_mul_f16_e32 v68, 0x3beb, v34
	v_add_f16_e32 v27, v40, v27
	v_fma_f16 v40, v26, s12, -v45
	v_add_f16_e32 v8, v10, v8
	v_fma_f16 v10, v28, s12, -v63
	v_fma_f16 v69, v23, s11, -v68
	v_add_f16_e32 v27, v40, v27
	v_fma_f16 v40, v28, s10, -v46
	v_add_f16_e32 v8, v10, v8
	v_fma_f16 v10, v0, s14, v64
	v_add_f16_e32 v65, v69, v65
	v_mul_f16_e32 v69, 0x3853, v36
	v_add_f16_e32 v27, v40, v27
	v_fma_f16 v40, v0, s11, v47
	v_add_f16_e32 v10, v6, v10
	v_fma_f16 v11, v19, s10, v66
	v_fma_f16 v70, v25, s12, -v69
	v_mul_f16_e32 v31, 0xb853, v31
	v_add_f16_e32 v40, v6, v40
	v_fma_f16 v14, v19, s13, v14
	v_add_f16_e32 v10, v11, v10
	v_fma_f16 v11, v21, s13, v67
	;; [unrolled: 2-line block ×3, first 2 shown]
	v_mul_f16_e32 v33, 0xbb47, v33
	v_add_f16_e32 v14, v14, v40
	v_fma_f16 v40, v21, s14, v48
	v_add_f16_e32 v10, v11, v10
	v_fma_f16 v11, v23, s11, v68
	v_add_f16_sdwa v70, v6, v70 dst_sel:DWORD dst_unused:UNUSED_PAD src0_sel:WORD_1 src1_sel:DWORD
	v_fma_f16 v71, v22, s14, v33
	v_mul_f16_e32 v35, 0xbbeb, v35
	v_add_f16_e32 v14, v40, v14
	v_fma_f16 v12, v23, s12, v12
	v_add_f16_e32 v10, v11, v10
	v_fma_f16 v11, v25, s12, v69
	;; [unrolled: 2-line block ×3, first 2 shown]
	v_mul_f16_e32 v37, 0xba0c, v37
	v_add_f16_e32 v12, v12, v14
	v_fma_f16 v14, v25, s10, v15
	v_add_f16_e32 v10, v11, v10
	v_fma_f16 v11, v20, s12, -v31
	v_add_f16_e32 v70, v71, v70
	v_fma_f16 v71, v26, s10, v37
	v_mul_f16_e32 v38, 0xb482, v38
	v_add_f16_e32 v12, v14, v12
	v_add_f16_sdwa v11, v6, v11 dst_sel:DWORD dst_unused:UNUSED_PAD src0_sel:WORD_1 src1_sel:DWORD
	v_fma_f16 v14, v22, s14, -v33
	v_add_f16_e32 v70, v71, v70
	v_fma_f16 v71, v28, s13, v38
	v_mul_f16_e32 v29, 0xb853, v29
	v_add_f16_e32 v11, v14, v11
	v_fma_f16 v14, v24, s11, -v35
	v_add_f16_e32 v70, v71, v70
	v_fma_f16 v71, v0, s12, -v29
	v_mul_f16_e32 v30, 0xbb47, v30
	v_add_f16_e32 v11, v14, v11
	v_fma_f16 v14, v26, s10, -v37
	v_add_f16_e32 v71, v6, v71
	v_fma_f16 v72, v19, s14, -v30
	v_mul_f16_e32 v32, 0xbbeb, v32
	v_add_f16_e32 v11, v14, v11
	v_fma_f16 v14, v28, s13, -v38
	v_fma_f16 v0, v0, s12, v29
	v_add_f16_e32 v71, v72, v71
	v_fma_f16 v72, v21, s11, -v32
	v_mul_f16_e32 v34, 0xba0c, v34
	v_add_f16_e32 v11, v14, v11
	v_add_f16_e32 v0, v6, v0
	v_fma_f16 v14, v19, s14, v30
	v_add_f16_e32 v71, v72, v71
	v_fma_f16 v72, v23, s10, -v34
	v_mul_f16_e32 v36, 0xb482, v36
	v_add_f16_e32 v0, v14, v0
	v_fma_f16 v14, v21, s11, v32
	v_add_f16_e32 v71, v72, v71
	v_fma_f16 v72, v25, s13, -v36
	v_add_f16_e32 v0, v14, v0
	v_fma_f16 v14, v23, s10, v34
	v_add_f16_e32 v71, v72, v71
	v_add_f16_e32 v0, v14, v0
	v_fma_f16 v14, v25, s13, v36
	v_add_f16_e32 v0, v14, v0
	v_mad_u32_u24 v14, v16, 40, v17
	v_pack_b32_f16 v15, v71, v70
	v_pack_b32_f16 v7, v49, v7
	ds_write2_b32 v14, v7, v15 offset1:1
	v_pack_b32_f16 v7, v13, v41
	v_pack_b32_f16 v9, v65, v9
	ds_write2_b32 v14, v9, v7 offset0:2 offset1:3
	v_pack_b32_f16 v7, v39, v42
	ds_write_b32 v14, v7 offset:16
	v_pk_fma_f16 v7, v51, s1, v50
	v_pack_b32_f16 v0, v0, v11
	v_pk_add_f16 v6, v6, v7 op_sel:[1,0] op_sel_hi:[0,1]
	v_pk_fma_f16 v7, v54, s15, v53
	s_nop 0
	v_pk_add_f16 v6, v7, v6
	v_pk_fma_f16 v7, v56, s18, v55
	s_nop 0
	v_pk_add_f16 v6, v7, v6
	;; [unrolled: 3-line block ×4, first 2 shown]
	s_nop 0
	v_alignbit_b32 v7, v52, v6, 16
	v_alignbit_b32 v6, v6, v61, 16
	ds_write2_b32 v14, v6, v7 offset0:5 offset1:6
	v_pack_b32_f16 v6, v12, v27
	v_perm_b32 v7, v18, v1, s0
	ds_write2_b32 v14, v7, v6 offset0:7 offset1:8
	v_pack_b32_f16 v6, v10, v8
	ds_write2_b32 v14, v6, v0 offset0:9 offset1:10
.LBB0_15:
	s_or_b64 exec, exec, s[4:5]
	s_movk_i32 s0, 0x75
	v_mul_lo_u16_sdwa v0, v16, s0 dst_sel:DWORD dst_unused:UNUSED_PAD src0_sel:BYTE_0 src1_sel:DWORD
	v_sub_u16_sdwa v6, v16, v0 dst_sel:DWORD dst_unused:UNUSED_PAD src0_sel:DWORD src1_sel:BYTE_1
	v_lshrrev_b16_e32 v6, 1, v6
	v_and_b32_e32 v6, 0x7f, v6
	v_add_u16_sdwa v0, v6, v0 dst_sel:DWORD dst_unused:UNUSED_PAD src0_sel:DWORD src1_sel:BYTE_1
	v_lshrrev_b16_e32 v19, 3, v0
	v_mul_lo_u16_e32 v0, 11, v19
	v_sub_u16_e32 v22, v16, v0
	v_mov_b32_e32 v0, 6
	v_mul_u32_u24_sdwa v0, v22, v0 dst_sel:DWORD dst_unused:UNUSED_PAD src0_sel:BYTE_0 src1_sel:DWORD
	v_lshlrev_b32_e32 v0, 2, v0
	s_load_dwordx2 s[2:3], s[2:3], 0x0
	s_waitcnt lgkmcnt(0)
	; wave barrier
	s_waitcnt lgkmcnt(0)
	global_load_dwordx4 v[6:9], v0, s[8:9]
	global_load_dwordx2 v[10:11], v0, s[8:9] offset:16
	ds_read2_b32 v[12:13], v17 offset1:44
	ds_read2_b32 v[14:15], v17 offset0:88 offset1:132
	ds_read2_b32 v[20:21], v17 offset0:176 offset1:220
	ds_read_b32 v0, v17 offset:1056
	s_mov_b32 s0, 0xffff
	s_mov_b32 s1, 0x7060302
	;; [unrolled: 1-line block ×3, first 2 shown]
	s_waitcnt lgkmcnt(1)
	v_lshrrev_b32_e32 v23, 16, v20
	v_bfi_b32 v24, s0, v15, v20
	v_alignbit_b32 v20, v20, v15, 16
	v_lshrrev_b32_e32 v25, 16, v13
	v_lshrrev_b32_e32 v26, 16, v14
	v_perm_b32 v27, v14, v13, s1
	v_perm_b32 v28, v14, v13, s4
	v_lshrrev_b32_e32 v29, 16, v21
	s_waitcnt lgkmcnt(0)
	v_lshrrev_b32_e32 v30, 16, v0
	v_perm_b32 v31, v21, v0, s1
	v_perm_b32 v32, v21, v0, s4
	s_mov_b32 s11, 0x2b2639e0
	s_movk_i32 s5, 0x3a52
	s_mov_b32 s13, 0x3b00370e
	s_movk_i32 s10, 0x2b26
	s_movk_i32 s12, 0x3574
	s_waitcnt lgkmcnt(0)
	; wave barrier
	s_waitcnt vmcnt(1)
	v_alignbit_b32 v33, v9, v8, 16
	v_lshrrev_b32_e32 v34, 16, v9
	v_bfi_b32 v9, s0, v8, v9
	v_mul_f16_sdwa v13, v6, v13 dst_sel:DWORD dst_unused:UNUSED_PAD src0_sel:WORD_1 src1_sel:DWORD
	v_perm_b32 v36, v7, v6, s1
	v_mul_f16_sdwa v14, v7, v14 dst_sel:DWORD dst_unused:UNUSED_PAD src0_sel:WORD_1 src1_sel:DWORD
	s_waitcnt vmcnt(0)
	v_mul_f16_sdwa v21, v10, v21 dst_sel:DWORD dst_unused:UNUSED_PAD src0_sel:WORD_1 src1_sel:DWORD
	v_perm_b32 v38, v10, v11, s1
	v_mul_f16_sdwa v0, v11, v0 dst_sel:DWORD dst_unused:UNUSED_PAD src0_sel:WORD_1 src1_sel:DWORD
	v_pk_mul_f16 v39, v33, v20
	v_perm_b32 v35, v7, v6, s4
	v_perm_b32 v37, v10, v11, s4
	v_pk_mul_f16 v9, v9, v20
	v_fma_f16 v6, v6, v25, v13
	v_pk_mul_f16 v13, v36, v27
	v_fma_f16 v7, v7, v26, v14
	v_fma_f16 v10, v10, v29, v21
	v_pk_mul_f16 v14, v38, v31
	v_fma_f16 v0, v11, v30, v0
	v_lshrrev_b32_e32 v11, 16, v39
	v_fma_f16 v8, v8, v15, -v39
	v_pk_fma_f16 v9, v33, v24, v9
	v_pk_fma_f16 v13, v35, v28, v13 neg_lo:[0,0,1] neg_hi:[0,0,1]
	v_pk_fma_f16 v14, v37, v32, v14 neg_lo:[0,0,1] neg_hi:[0,0,1]
	v_add_f16_e32 v15, v6, v0
	v_sub_f16_e32 v0, v6, v0
	v_add_f16_e32 v6, v7, v10
	v_fma_f16 v11, -v34, v23, v11
	v_add_f16_sdwa v20, v9, v9 dst_sel:DWORD dst_unused:UNUSED_PAD src0_sel:DWORD src1_sel:WORD_1
	v_pk_add_f16 v21, v13, v14
	v_pk_add_f16 v23, v13, v14 neg_lo:[0,1] neg_hi:[0,1]
	v_add_f16_e32 v24, v6, v15
	v_alignbit_b32 v13, v8, v13, 16
	v_sub_f16_e32 v8, v11, v8
	v_alignbit_b32 v11, v11, v14, 16
	v_sub_f16_e32 v25, v6, v15
	v_sub_f16_e32 v15, v15, v20
	;; [unrolled: 1-line block ×3, first 2 shown]
	v_add_f16_e32 v20, v20, v24
	v_lshlrev_b32_e32 v24, 16, v23
	v_add_f16_sdwa v14, v8, v23 dst_sel:DWORD dst_unused:UNUSED_PAD src0_sel:DWORD src1_sel:WORD_1
	v_pk_add_f16 v11, v13, v11
	v_bfi_b32 v7, s0, v7, v9
	v_sub_f16_sdwa v26, v8, v23 dst_sel:DWORD dst_unused:UNUSED_PAD src0_sel:DWORD src1_sel:WORD_1
	v_sub_f16_e32 v8, v23, v8
	v_pk_add_f16 v24, v23, v24 neg_lo:[0,1] neg_hi:[0,1]
	v_pk_add_f16 v13, v23, v14
	v_sub_f16_sdwa v14, v21, v11 dst_sel:DWORD dst_unused:UNUSED_PAD src0_sel:DWORD src1_sel:WORD_1
	v_pack_b32_f16 v23, v21, v11
	v_add_f16_e32 v21, v11, v21
	v_pack_b32_f16 v9, v10, v9
	v_pk_add_f16 v23, v11, v23 neg_lo:[0,1] neg_hi:[0,1]
	v_add_f16_sdwa v11, v11, v21 dst_sel:DWORD dst_unused:UNUSED_PAD src0_sel:WORD_1 src1_sel:DWORD
	v_pk_add_f16 v7, v7, v9 neg_lo:[0,1] neg_hi:[0,1]
	v_add_f16_sdwa v27, v20, v12 dst_sel:DWORD dst_unused:UNUSED_PAD src0_sel:DWORD src1_sel:WORD_1
	v_add_f16_e32 v21, v11, v12
	v_pk_mul_f16 v12, v23, s11
	v_pack_b32_f16 v23, v0, v7
	v_bfi_b32 v13, s0, v13, v24
	v_add_f16_sdwa v9, v7, v7 dst_sel:DWORD dst_unused:UNUSED_PAD src0_sel:WORD_1 src1_sel:DWORD
	v_sub_f16_sdwa v10, v0, v7 dst_sel:DWORD dst_unused:UNUSED_PAD src0_sel:DWORD src1_sel:WORD_1
	v_pk_add_f16 v7, v7, v23 neg_lo:[0,1] neg_hi:[0,1]
	s_mov_b32 s0, 0xb8463b00
	v_pk_mul_f16 v7, v7, s0
	s_mov_b32 s0, 0xbcab
	v_mul_f16_e32 v28, 0x2b26, v6
	v_add_f16_e32 v0, v9, v0
	v_fma_f16 v9, v11, s0, v21
	v_fma_f16 v11, v20, s0, v27
	s_movk_i32 s0, 0x39e0
	v_lshrrev_b32_e32 v20, 16, v12
	v_fma_f16 v24, v25, s0, -v28
	s_mov_b32 s0, 0xba52
	v_mul_f16_e32 v15, 0x3a52, v15
	v_fma_f16 v23, v14, s5, v20
	v_sub_f16_e32 v20, v12, v20
	v_fma_f16 v12, v14, s0, -v12
	s_mov_b32 s0, 0xb9e0
	v_mul_f16_e32 v29, 0x3574, v8
	v_pk_mul_f16 v13, v13, s13
	v_fma_f16 v14, v25, s0, -v15
	s_mov_b32 s0, 0xb846
	v_fma_f16 v6, v6, s10, v15
	v_fma_f16 v15, v26, s0, v29
	v_lshrrev_b32_e32 v29, 16, v13
	s_movk_i32 s0, 0x3846
	v_lshrrev_b32_e32 v25, 16, v7
	v_fma_f16 v26, v26, s0, v29
	s_mov_b32 s0, 0xb574
	v_fma_f16 v28, v10, s12, v25
	v_sub_f16_e32 v25, v7, v25
	v_fma_f16 v8, v8, s0, -v29
	v_fma_f16 v7, v10, s0, -v7
	s_movk_i32 s0, 0x370e
	v_add_f16_e32 v10, v23, v9
	v_add_f16_e32 v23, v6, v11
	;; [unrolled: 1-line block ×7, first 2 shown]
	v_fma_f16 v15, v0, s0, v28
	v_fma_f16 v24, v0, s0, v25
	v_fma_f16 v0, v0, s0, v7
	v_add_f16_e32 v8, v13, v8
	v_add_f16_e32 v28, v0, v9
	v_sub_f16_e32 v7, v9, v0
	v_mov_b32_e32 v9, 2
	v_add_f16_e32 v12, v13, v26
	v_add_f16_e32 v25, v15, v10
	v_sub_f16_e32 v26, v23, v14
	v_sub_f16_e32 v29, v11, v8
	v_add_f16_e32 v13, v8, v11
	v_mul_u32_u24_e32 v8, 0x134, v19
	v_lshlrev_b32_sdwa v9, v9, v22 dst_sel:DWORD dst_unused:UNUSED_PAD src0_sel:DWORD src1_sel:BYTE_0
	v_sub_f16_e32 v30, v6, v24
	v_add_f16_e32 v31, v12, v20
	v_sub_f16_e32 v0, v10, v15
	v_add3_u32 v8, 0, v8, v9
	v_pack_b32_f16 v9, v21, v27
	v_pack_b32_f16 v10, v25, v26
	v_add_f16_e32 v6, v24, v6
	v_sub_f16_e32 v12, v20, v12
	ds_write2_b32 v8, v9, v10 offset1:11
	v_pack_b32_f16 v9, v28, v29
	v_pack_b32_f16 v10, v30, v31
	v_add_f16_e32 v14, v14, v23
	ds_write2_b32 v8, v9, v10 offset0:22 offset1:33
	v_pack_b32_f16 v9, v6, v12
	v_pack_b32_f16 v10, v7, v13
	ds_write2_b32 v8, v9, v10 offset0:44 offset1:55
	v_pack_b32_f16 v9, v0, v14
	ds_write_b32 v8, v9 offset:264
	s_waitcnt lgkmcnt(0)
	; wave barrier
	s_waitcnt lgkmcnt(0)
	ds_read2_b32 v[8:9], v17 offset1:77
	ds_read2_b32 v[10:11], v17 offset0:154 offset1:231
	v_cmp_gt_u32_e64 s[0:1], 33, v16
	s_and_saveexec_b64 s[4:5], s[0:1]
	s_cbranch_execz .LBB0_17
; %bb.16:
	v_add_u32_e32 v0, 0x200, v17
	ds_read2_b32 v[6:7], v17 offset0:44 offset1:121
	ds_read2_b32 v[0:1], v0 offset0:70 offset1:147
	s_waitcnt lgkmcnt(1)
	v_lshrrev_b32_e32 v12, 16, v6
	v_lshrrev_b32_e32 v13, 16, v7
	s_waitcnt lgkmcnt(0)
	v_lshrrev_b32_e32 v14, 16, v0
	v_lshrrev_b32_e32 v18, 16, v1
.LBB0_17:
	s_or_b64 exec, exec, s[4:5]
	v_mul_u32_u24_e32 v15, 3, v16
	v_lshlrev_b32_e32 v15, 2, v15
	global_load_dwordx3 v[20:22], v15, s[8:9] offset:264
	s_waitcnt lgkmcnt(0)
	v_lshrrev_b32_e32 v19, 16, v11
	v_lshrrev_b32_e32 v23, 16, v10
	;; [unrolled: 1-line block ×4, first 2 shown]
	s_waitcnt lgkmcnt(0)
	; wave barrier
	s_waitcnt vmcnt(0)
	v_mul_f16_sdwa v25, v20, v24 dst_sel:DWORD dst_unused:UNUSED_PAD src0_sel:WORD_1 src1_sel:DWORD
	v_mul_f16_sdwa v26, v20, v9 dst_sel:DWORD dst_unused:UNUSED_PAD src0_sel:WORD_1 src1_sel:DWORD
	;; [unrolled: 1-line block ×6, first 2 shown]
	v_fma_f16 v9, v20, v9, -v25
	v_fma_f16 v20, v20, v24, v26
	v_fma_f16 v10, v21, v10, -v27
	v_fma_f16 v21, v21, v23, v28
	;; [unrolled: 2-line block ×3, first 2 shown]
	v_sub_f16_e32 v10, v8, v10
	v_sub_f16_e32 v21, v15, v21
	;; [unrolled: 1-line block ×4, first 2 shown]
	v_fma_f16 v8, v8, 2.0, -v10
	v_fma_f16 v15, v15, 2.0, -v21
	;; [unrolled: 1-line block ×4, first 2 shown]
	v_sub_f16_e32 v19, v10, v19
	v_add_f16_e32 v11, v21, v11
	v_sub_f16_e32 v9, v8, v9
	v_sub_f16_e32 v20, v15, v20
	v_fma_f16 v10, v10, 2.0, -v19
	v_fma_f16 v21, v21, 2.0, -v11
	;; [unrolled: 1-line block ×4, first 2 shown]
	v_pack_b32_f16 v10, v10, v21
	v_pack_b32_f16 v8, v8, v15
	;; [unrolled: 1-line block ×4, first 2 shown]
	ds_write2_b32 v17, v8, v10 offset1:77
	ds_write2_b32 v17, v9, v11 offset0:154 offset1:231
	s_and_saveexec_b64 s[4:5], s[0:1]
	s_cbranch_execz .LBB0_19
; %bb.18:
	v_add_u32_e32 v8, 44, v16
	v_subrev_u32_e32 v9, 33, v16
	v_cndmask_b32_e64 v8, v9, v8, s[0:1]
	v_mul_i32_i24_e32 v8, 3, v8
	v_mov_b32_e32 v9, 0
	v_lshl_add_u64 v[8:9], v[8:9], 2, s[8:9]
	global_load_dwordx3 v[8:10], v[8:9], off offset:264
	v_add_u32_e32 v11, 0x200, v17
	s_waitcnt vmcnt(0)
	v_mul_f16_sdwa v15, v14, v9 dst_sel:DWORD dst_unused:UNUSED_PAD src0_sel:DWORD src1_sel:WORD_1
	v_mul_f16_sdwa v19, v7, v8 dst_sel:DWORD dst_unused:UNUSED_PAD src0_sel:DWORD src1_sel:WORD_1
	;; [unrolled: 1-line block ×6, first 2 shown]
	v_fma_f16 v0, v0, v9, -v15
	v_fma_f16 v13, v13, v8, v19
	v_fma_f16 v15, v18, v10, v20
	;; [unrolled: 1-line block ×3, first 2 shown]
	v_fma_f16 v7, v7, v8, -v22
	v_fma_f16 v1, v1, v10, -v23
	v_sub_f16_e32 v0, v6, v0
	v_sub_f16_e32 v8, v13, v15
	;; [unrolled: 1-line block ×5, first 2 shown]
	v_add_f16_e32 v14, v9, v1
	v_fma_f16 v6, v6, 2.0, -v0
	v_fma_f16 v1, v7, 2.0, -v1
	;; [unrolled: 1-line block ×4, first 2 shown]
	v_sub_f16_e32 v1, v6, v1
	v_sub_f16_e32 v8, v7, v8
	v_fma_f16 v0, v0, 2.0, -v10
	v_fma_f16 v9, v9, 2.0, -v14
	;; [unrolled: 1-line block ×4, first 2 shown]
	v_pack_b32_f16 v0, v0, v9
	v_pack_b32_f16 v6, v6, v7
	;; [unrolled: 1-line block ×4, first 2 shown]
	ds_write2_b32 v17, v6, v0 offset0:44 offset1:121
	ds_write2_b32 v11, v1, v10 offset0:70 offset1:147
.LBB0_19:
	s_or_b64 exec, exec, s[4:5]
	s_waitcnt lgkmcnt(0)
	; wave barrier
	s_waitcnt lgkmcnt(0)
	s_and_saveexec_b64 s[0:1], vcc
	s_cbranch_execz .LBB0_21
; %bb.20:
	v_mul_lo_u32 v6, s3, v4
	v_mul_lo_u32 v5, s2, v5
	v_mad_u64_u32 v[0:1], s[0:1], s2, v4, 0
	v_lshl_add_u32 v10, v16, 2, 0
	v_add3_u32 v1, v1, v5, v6
	v_mad_u64_u32 v[4:5], s[0:1], s16, v16, 0
	ds_read2_b32 v[8:9], v10 offset1:44
	v_mov_b32_e32 v6, v5
	v_mad_u64_u32 v[6:7], s[0:1], s17, v16, v[6:7]
	v_lshl_add_u64 v[0:1], v[0:1], 2, s[6:7]
	v_mov_b32_e32 v5, v6
	v_lshl_add_u64 v[0:1], v[2:3], 2, v[0:1]
	v_lshl_add_u64 v[2:3], v[4:5], 2, v[0:1]
	v_add_u32_e32 v5, 44, v16
	s_waitcnt lgkmcnt(0)
	global_store_dword v[2:3], v8, off
	v_mad_u64_u32 v[2:3], s[0:1], s16, v5, 0
	v_mov_b32_e32 v4, v3
	v_mad_u64_u32 v[4:5], s[0:1], s17, v5, v[4:5]
	v_mov_b32_e32 v3, v4
	v_lshl_add_u64 v[2:3], v[2:3], 2, v[0:1]
	v_add_u32_e32 v5, 0x58, v16
	global_store_dword v[2:3], v9, off
	v_mad_u64_u32 v[2:3], s[0:1], s16, v5, 0
	ds_read2_b32 v[6:7], v10 offset0:88 offset1:132
	v_mov_b32_e32 v4, v3
	v_mad_u64_u32 v[4:5], s[0:1], s17, v5, v[4:5]
	v_mov_b32_e32 v3, v4
	v_lshl_add_u64 v[2:3], v[2:3], 2, v[0:1]
	v_add_u32_e32 v5, 0x84, v16
	s_waitcnt lgkmcnt(0)
	global_store_dword v[2:3], v6, off
	v_mad_u64_u32 v[2:3], s[0:1], s16, v5, 0
	v_mov_b32_e32 v4, v3
	v_mad_u64_u32 v[4:5], s[0:1], s17, v5, v[4:5]
	v_mov_b32_e32 v3, v4
	v_lshl_add_u64 v[2:3], v[2:3], 2, v[0:1]
	v_add_u32_e32 v5, 0xb0, v16
	global_store_dword v[2:3], v7, off
	v_mad_u64_u32 v[2:3], s[0:1], s16, v5, 0
	ds_read2_b32 v[6:7], v10 offset0:176 offset1:220
	v_mov_b32_e32 v4, v3
	v_mad_u64_u32 v[4:5], s[0:1], s17, v5, v[4:5]
	v_mov_b32_e32 v3, v4
	v_lshl_add_u64 v[2:3], v[2:3], 2, v[0:1]
	v_add_u32_e32 v5, 0xdc, v16
	s_waitcnt lgkmcnt(0)
	global_store_dword v[2:3], v6, off
	v_mad_u64_u32 v[2:3], s[0:1], s16, v5, 0
	v_mov_b32_e32 v4, v3
	v_mad_u64_u32 v[4:5], s[0:1], s17, v5, v[4:5]
	v_mov_b32_e32 v3, v4
	v_lshl_add_u64 v[2:3], v[2:3], 2, v[0:1]
	v_add_u32_e32 v5, 0x108, v16
	global_store_dword v[2:3], v7, off
	v_mad_u64_u32 v[2:3], s[0:1], s16, v5, 0
	ds_read_b32 v6, v10 offset:1056
	v_mov_b32_e32 v4, v3
	v_mad_u64_u32 v[4:5], s[0:1], s17, v5, v[4:5]
	v_mov_b32_e32 v3, v4
	v_lshl_add_u64 v[0:1], v[2:3], 2, v[0:1]
	s_waitcnt lgkmcnt(0)
	global_store_dword v[0:1], v6, off
.LBB0_21:
	s_endpgm
	.section	.rodata,"a",@progbits
	.p2align	6, 0x0
	.amdhsa_kernel fft_rtc_fwd_len308_factors_11_7_4_wgs_44_tpt_44_half_op_CI_CI_sbrr_dirReg
		.amdhsa_group_segment_fixed_size 0
		.amdhsa_private_segment_fixed_size 0
		.amdhsa_kernarg_size 104
		.amdhsa_user_sgpr_count 2
		.amdhsa_user_sgpr_dispatch_ptr 0
		.amdhsa_user_sgpr_queue_ptr 0
		.amdhsa_user_sgpr_kernarg_segment_ptr 1
		.amdhsa_user_sgpr_dispatch_id 0
		.amdhsa_user_sgpr_kernarg_preload_length 0
		.amdhsa_user_sgpr_kernarg_preload_offset 0
		.amdhsa_user_sgpr_private_segment_size 0
		.amdhsa_uses_dynamic_stack 0
		.amdhsa_enable_private_segment 0
		.amdhsa_system_sgpr_workgroup_id_x 1
		.amdhsa_system_sgpr_workgroup_id_y 0
		.amdhsa_system_sgpr_workgroup_id_z 0
		.amdhsa_system_sgpr_workgroup_info 0
		.amdhsa_system_vgpr_workitem_id 0
		.amdhsa_next_free_vgpr 73
		.amdhsa_next_free_sgpr 32
		.amdhsa_accum_offset 76
		.amdhsa_reserve_vcc 1
		.amdhsa_float_round_mode_32 0
		.amdhsa_float_round_mode_16_64 0
		.amdhsa_float_denorm_mode_32 3
		.amdhsa_float_denorm_mode_16_64 3
		.amdhsa_dx10_clamp 1
		.amdhsa_ieee_mode 1
		.amdhsa_fp16_overflow 0
		.amdhsa_tg_split 0
		.amdhsa_exception_fp_ieee_invalid_op 0
		.amdhsa_exception_fp_denorm_src 0
		.amdhsa_exception_fp_ieee_div_zero 0
		.amdhsa_exception_fp_ieee_overflow 0
		.amdhsa_exception_fp_ieee_underflow 0
		.amdhsa_exception_fp_ieee_inexact 0
		.amdhsa_exception_int_div_zero 0
	.end_amdhsa_kernel
	.text
.Lfunc_end0:
	.size	fft_rtc_fwd_len308_factors_11_7_4_wgs_44_tpt_44_half_op_CI_CI_sbrr_dirReg, .Lfunc_end0-fft_rtc_fwd_len308_factors_11_7_4_wgs_44_tpt_44_half_op_CI_CI_sbrr_dirReg
                                        ; -- End function
	.section	.AMDGPU.csdata,"",@progbits
; Kernel info:
; codeLenInByte = 6332
; NumSgprs: 38
; NumVgprs: 73
; NumAgprs: 0
; TotalNumVgprs: 73
; ScratchSize: 0
; MemoryBound: 0
; FloatMode: 240
; IeeeMode: 1
; LDSByteSize: 0 bytes/workgroup (compile time only)
; SGPRBlocks: 4
; VGPRBlocks: 9
; NumSGPRsForWavesPerEU: 38
; NumVGPRsForWavesPerEU: 73
; AccumOffset: 76
; Occupancy: 6
; WaveLimiterHint : 1
; COMPUTE_PGM_RSRC2:SCRATCH_EN: 0
; COMPUTE_PGM_RSRC2:USER_SGPR: 2
; COMPUTE_PGM_RSRC2:TRAP_HANDLER: 0
; COMPUTE_PGM_RSRC2:TGID_X_EN: 1
; COMPUTE_PGM_RSRC2:TGID_Y_EN: 0
; COMPUTE_PGM_RSRC2:TGID_Z_EN: 0
; COMPUTE_PGM_RSRC2:TIDIG_COMP_CNT: 0
; COMPUTE_PGM_RSRC3_GFX90A:ACCUM_OFFSET: 18
; COMPUTE_PGM_RSRC3_GFX90A:TG_SPLIT: 0
	.text
	.p2alignl 6, 3212836864
	.fill 256, 4, 3212836864
	.type	__hip_cuid_242204fe3701fee1,@object ; @__hip_cuid_242204fe3701fee1
	.section	.bss,"aw",@nobits
	.globl	__hip_cuid_242204fe3701fee1
__hip_cuid_242204fe3701fee1:
	.byte	0                               ; 0x0
	.size	__hip_cuid_242204fe3701fee1, 1

	.ident	"AMD clang version 19.0.0git (https://github.com/RadeonOpenCompute/llvm-project roc-6.4.0 25133 c7fe45cf4b819c5991fe208aaa96edf142730f1d)"
	.section	".note.GNU-stack","",@progbits
	.addrsig
	.addrsig_sym __hip_cuid_242204fe3701fee1
	.amdgpu_metadata
---
amdhsa.kernels:
  - .agpr_count:     0
    .args:
      - .actual_access:  read_only
        .address_space:  global
        .offset:         0
        .size:           8
        .value_kind:     global_buffer
      - .offset:         8
        .size:           8
        .value_kind:     by_value
      - .actual_access:  read_only
        .address_space:  global
        .offset:         16
        .size:           8
        .value_kind:     global_buffer
      - .actual_access:  read_only
        .address_space:  global
        .offset:         24
        .size:           8
        .value_kind:     global_buffer
      - .actual_access:  read_only
        .address_space:  global
        .offset:         32
        .size:           8
        .value_kind:     global_buffer
      - .offset:         40
        .size:           8
        .value_kind:     by_value
      - .actual_access:  read_only
        .address_space:  global
        .offset:         48
        .size:           8
        .value_kind:     global_buffer
      - .actual_access:  read_only
        .address_space:  global
        .offset:         56
        .size:           8
        .value_kind:     global_buffer
      - .offset:         64
        .size:           4
        .value_kind:     by_value
      - .actual_access:  read_only
        .address_space:  global
        .offset:         72
        .size:           8
        .value_kind:     global_buffer
      - .actual_access:  read_only
        .address_space:  global
        .offset:         80
        .size:           8
        .value_kind:     global_buffer
      - .actual_access:  read_only
        .address_space:  global
        .offset:         88
        .size:           8
        .value_kind:     global_buffer
      - .actual_access:  write_only
        .address_space:  global
        .offset:         96
        .size:           8
        .value_kind:     global_buffer
    .group_segment_fixed_size: 0
    .kernarg_segment_align: 8
    .kernarg_segment_size: 104
    .language:       OpenCL C
    .language_version:
      - 2
      - 0
    .max_flat_workgroup_size: 44
    .name:           fft_rtc_fwd_len308_factors_11_7_4_wgs_44_tpt_44_half_op_CI_CI_sbrr_dirReg
    .private_segment_fixed_size: 0
    .sgpr_count:     38
    .sgpr_spill_count: 0
    .symbol:         fft_rtc_fwd_len308_factors_11_7_4_wgs_44_tpt_44_half_op_CI_CI_sbrr_dirReg.kd
    .uniform_work_group_size: 1
    .uses_dynamic_stack: false
    .vgpr_count:     73
    .vgpr_spill_count: 0
    .wavefront_size: 64
amdhsa.target:   amdgcn-amd-amdhsa--gfx950
amdhsa.version:
  - 1
  - 2
...

	.end_amdgpu_metadata
